;; amdgpu-corpus repo=ROCm/rocFFT kind=compiled arch=gfx1030 opt=O3
	.text
	.amdgcn_target "amdgcn-amd-amdhsa--gfx1030"
	.amdhsa_code_object_version 6
	.protected	fft_rtc_fwd_len1001_factors_13_7_11_wgs_182_tpt_91_halfLds_half_op_CI_CI_unitstride_sbrr_dirReg ; -- Begin function fft_rtc_fwd_len1001_factors_13_7_11_wgs_182_tpt_91_halfLds_half_op_CI_CI_unitstride_sbrr_dirReg
	.globl	fft_rtc_fwd_len1001_factors_13_7_11_wgs_182_tpt_91_halfLds_half_op_CI_CI_unitstride_sbrr_dirReg
	.p2align	8
	.type	fft_rtc_fwd_len1001_factors_13_7_11_wgs_182_tpt_91_halfLds_half_op_CI_CI_unitstride_sbrr_dirReg,@function
fft_rtc_fwd_len1001_factors_13_7_11_wgs_182_tpt_91_halfLds_half_op_CI_CI_unitstride_sbrr_dirReg: ; @fft_rtc_fwd_len1001_factors_13_7_11_wgs_182_tpt_91_halfLds_half_op_CI_CI_unitstride_sbrr_dirReg
; %bb.0:
	s_clause 0x2
	s_load_dwordx4 s[12:15], s[4:5], 0x0
	s_load_dwordx4 s[8:11], s[4:5], 0x58
	;; [unrolled: 1-line block ×3, first 2 shown]
	v_mul_u32_u24_e32 v1, 0x2d1, v0
	v_mov_b32_e32 v3, 0
	v_lshrrev_b32_e32 v7, 16, v1
	v_mov_b32_e32 v1, 0
	v_mov_b32_e32 v6, v3
	v_mov_b32_e32 v2, 0
	v_lshl_add_u32 v5, s6, 1, v7
	s_waitcnt lgkmcnt(0)
	v_cmp_lt_u64_e64 s0, s[14:15], 2
	s_and_b32 vcc_lo, exec_lo, s0
	s_cbranch_vccnz .LBB0_8
; %bb.1:
	s_load_dwordx2 s[0:1], s[4:5], 0x10
	v_mov_b32_e32 v1, 0
	v_mov_b32_e32 v2, 0
	s_add_u32 s2, s18, 8
	s_addc_u32 s3, s19, 0
	s_add_u32 s6, s16, 8
	s_addc_u32 s7, s17, 0
	v_mov_b32_e32 v9, v2
	v_mov_b32_e32 v8, v1
	s_mov_b64 s[22:23], 1
	s_waitcnt lgkmcnt(0)
	s_add_u32 s20, s0, 8
	s_addc_u32 s21, s1, 0
.LBB0_2:                                ; =>This Inner Loop Header: Depth=1
	s_load_dwordx2 s[24:25], s[20:21], 0x0
                                        ; implicit-def: $vgpr11_vgpr12
	s_mov_b32 s0, exec_lo
	s_waitcnt lgkmcnt(0)
	v_or_b32_e32 v4, s25, v6
	v_cmpx_ne_u64_e32 0, v[3:4]
	s_xor_b32 s1, exec_lo, s0
	s_cbranch_execz .LBB0_4
; %bb.3:                                ;   in Loop: Header=BB0_2 Depth=1
	v_cvt_f32_u32_e32 v4, s24
	v_cvt_f32_u32_e32 v10, s25
	s_sub_u32 s0, 0, s24
	s_subb_u32 s26, 0, s25
	v_fmac_f32_e32 v4, 0x4f800000, v10
	v_rcp_f32_e32 v4, v4
	v_mul_f32_e32 v4, 0x5f7ffffc, v4
	v_mul_f32_e32 v10, 0x2f800000, v4
	v_trunc_f32_e32 v10, v10
	v_fmac_f32_e32 v4, 0xcf800000, v10
	v_cvt_u32_f32_e32 v10, v10
	v_cvt_u32_f32_e32 v4, v4
	v_mul_lo_u32 v11, s0, v10
	v_mul_hi_u32 v12, s0, v4
	v_mul_lo_u32 v13, s26, v4
	v_add_nc_u32_e32 v11, v12, v11
	v_mul_lo_u32 v12, s0, v4
	v_add_nc_u32_e32 v11, v11, v13
	v_mul_hi_u32 v13, v4, v12
	v_mul_lo_u32 v14, v4, v11
	v_mul_hi_u32 v15, v4, v11
	v_mul_hi_u32 v16, v10, v12
	v_mul_lo_u32 v12, v10, v12
	v_mul_hi_u32 v17, v10, v11
	v_mul_lo_u32 v11, v10, v11
	v_add_co_u32 v13, vcc_lo, v13, v14
	v_add_co_ci_u32_e32 v14, vcc_lo, 0, v15, vcc_lo
	v_add_co_u32 v12, vcc_lo, v13, v12
	v_add_co_ci_u32_e32 v12, vcc_lo, v14, v16, vcc_lo
	v_add_co_ci_u32_e32 v13, vcc_lo, 0, v17, vcc_lo
	v_add_co_u32 v11, vcc_lo, v12, v11
	v_add_co_ci_u32_e32 v12, vcc_lo, 0, v13, vcc_lo
	v_add_co_u32 v4, vcc_lo, v4, v11
	v_add_co_ci_u32_e32 v10, vcc_lo, v10, v12, vcc_lo
	v_mul_hi_u32 v11, s0, v4
	v_mul_lo_u32 v13, s26, v4
	v_mul_lo_u32 v12, s0, v10
	v_add_nc_u32_e32 v11, v11, v12
	v_mul_lo_u32 v12, s0, v4
	v_add_nc_u32_e32 v11, v11, v13
	v_mul_hi_u32 v13, v4, v12
	v_mul_lo_u32 v14, v4, v11
	v_mul_hi_u32 v15, v4, v11
	v_mul_hi_u32 v16, v10, v12
	v_mul_lo_u32 v12, v10, v12
	v_mul_hi_u32 v17, v10, v11
	v_mul_lo_u32 v11, v10, v11
	v_add_co_u32 v13, vcc_lo, v13, v14
	v_add_co_ci_u32_e32 v14, vcc_lo, 0, v15, vcc_lo
	v_add_co_u32 v12, vcc_lo, v13, v12
	v_add_co_ci_u32_e32 v12, vcc_lo, v14, v16, vcc_lo
	v_add_co_ci_u32_e32 v13, vcc_lo, 0, v17, vcc_lo
	v_add_co_u32 v11, vcc_lo, v12, v11
	v_add_co_ci_u32_e32 v12, vcc_lo, 0, v13, vcc_lo
	v_add_co_u32 v4, vcc_lo, v4, v11
	v_add_co_ci_u32_e32 v14, vcc_lo, v10, v12, vcc_lo
	v_mul_hi_u32 v16, v5, v4
	v_mad_u64_u32 v[12:13], null, v6, v4, 0
	v_mad_u64_u32 v[10:11], null, v5, v14, 0
	v_mad_u64_u32 v[14:15], null, v6, v14, 0
	v_add_co_u32 v4, vcc_lo, v16, v10
	v_add_co_ci_u32_e32 v10, vcc_lo, 0, v11, vcc_lo
	v_add_co_u32 v4, vcc_lo, v4, v12
	v_add_co_ci_u32_e32 v4, vcc_lo, v10, v13, vcc_lo
	v_add_co_ci_u32_e32 v10, vcc_lo, 0, v15, vcc_lo
	v_add_co_u32 v4, vcc_lo, v4, v14
	v_add_co_ci_u32_e32 v12, vcc_lo, 0, v10, vcc_lo
	v_mul_lo_u32 v13, s25, v4
	v_mad_u64_u32 v[10:11], null, s24, v4, 0
	v_mul_lo_u32 v14, s24, v12
	v_sub_co_u32 v10, vcc_lo, v5, v10
	v_add3_u32 v11, v11, v14, v13
	v_sub_nc_u32_e32 v13, v6, v11
	v_subrev_co_ci_u32_e64 v13, s0, s25, v13, vcc_lo
	v_add_co_u32 v14, s0, v4, 2
	v_add_co_ci_u32_e64 v15, s0, 0, v12, s0
	v_sub_co_u32 v16, s0, v10, s24
	v_sub_co_ci_u32_e32 v11, vcc_lo, v6, v11, vcc_lo
	v_subrev_co_ci_u32_e64 v13, s0, 0, v13, s0
	v_cmp_le_u32_e32 vcc_lo, s24, v16
	v_cmp_eq_u32_e64 s0, s25, v11
	v_cndmask_b32_e64 v16, 0, -1, vcc_lo
	v_cmp_le_u32_e32 vcc_lo, s25, v13
	v_cndmask_b32_e64 v17, 0, -1, vcc_lo
	v_cmp_le_u32_e32 vcc_lo, s24, v10
	;; [unrolled: 2-line block ×3, first 2 shown]
	v_cndmask_b32_e64 v18, 0, -1, vcc_lo
	v_cmp_eq_u32_e32 vcc_lo, s25, v13
	v_cndmask_b32_e64 v10, v18, v10, s0
	v_cndmask_b32_e32 v13, v17, v16, vcc_lo
	v_add_co_u32 v16, vcc_lo, v4, 1
	v_add_co_ci_u32_e32 v17, vcc_lo, 0, v12, vcc_lo
	v_cmp_ne_u32_e32 vcc_lo, 0, v13
	v_cndmask_b32_e32 v11, v17, v15, vcc_lo
	v_cndmask_b32_e32 v13, v16, v14, vcc_lo
	v_cmp_ne_u32_e32 vcc_lo, 0, v10
	v_cndmask_b32_e32 v12, v12, v11, vcc_lo
	v_cndmask_b32_e32 v11, v4, v13, vcc_lo
.LBB0_4:                                ;   in Loop: Header=BB0_2 Depth=1
	s_andn2_saveexec_b32 s0, s1
	s_cbranch_execz .LBB0_6
; %bb.5:                                ;   in Loop: Header=BB0_2 Depth=1
	v_cvt_f32_u32_e32 v4, s24
	s_sub_i32 s1, 0, s24
	v_rcp_iflag_f32_e32 v4, v4
	v_mul_f32_e32 v4, 0x4f7ffffe, v4
	v_cvt_u32_f32_e32 v4, v4
	v_mul_lo_u32 v10, s1, v4
	v_mul_hi_u32 v10, v4, v10
	v_add_nc_u32_e32 v4, v4, v10
	v_mul_hi_u32 v4, v5, v4
	v_mul_lo_u32 v10, v4, s24
	v_add_nc_u32_e32 v11, 1, v4
	v_sub_nc_u32_e32 v10, v5, v10
	v_subrev_nc_u32_e32 v12, s24, v10
	v_cmp_le_u32_e32 vcc_lo, s24, v10
	v_cndmask_b32_e32 v10, v10, v12, vcc_lo
	v_cndmask_b32_e32 v4, v4, v11, vcc_lo
	v_mov_b32_e32 v12, v3
	v_cmp_le_u32_e32 vcc_lo, s24, v10
	v_add_nc_u32_e32 v11, 1, v4
	v_cndmask_b32_e32 v11, v4, v11, vcc_lo
.LBB0_6:                                ;   in Loop: Header=BB0_2 Depth=1
	s_or_b32 exec_lo, exec_lo, s0
	v_mul_lo_u32 v4, v12, s24
	v_mul_lo_u32 v10, v11, s25
	s_load_dwordx2 s[0:1], s[6:7], 0x0
	v_mad_u64_u32 v[13:14], null, v11, s24, 0
	s_load_dwordx2 s[24:25], s[2:3], 0x0
	s_add_u32 s22, s22, 1
	s_addc_u32 s23, s23, 0
	s_add_u32 s2, s2, 8
	s_addc_u32 s3, s3, 0
	s_add_u32 s6, s6, 8
	v_add3_u32 v4, v14, v10, v4
	v_sub_co_u32 v5, vcc_lo, v5, v13
	s_addc_u32 s7, s7, 0
	s_add_u32 s20, s20, 8
	v_sub_co_ci_u32_e32 v4, vcc_lo, v6, v4, vcc_lo
	s_addc_u32 s21, s21, 0
	s_waitcnt lgkmcnt(0)
	v_mul_lo_u32 v6, s0, v4
	v_mul_lo_u32 v10, s1, v5
	v_mad_u64_u32 v[1:2], null, s0, v5, v[1:2]
	v_mul_lo_u32 v4, s24, v4
	v_mul_lo_u32 v13, s25, v5
	v_mad_u64_u32 v[8:9], null, s24, v5, v[8:9]
	v_cmp_ge_u64_e64 s0, s[22:23], s[14:15]
	v_add3_u32 v2, v10, v2, v6
	v_add3_u32 v9, v13, v9, v4
	s_and_b32 vcc_lo, exec_lo, s0
	s_cbranch_vccnz .LBB0_9
; %bb.7:                                ;   in Loop: Header=BB0_2 Depth=1
	v_mov_b32_e32 v5, v11
	v_mov_b32_e32 v6, v12
	s_branch .LBB0_2
.LBB0_8:
	v_mov_b32_e32 v9, v2
	v_mov_b32_e32 v12, v6
	;; [unrolled: 1-line block ×4, first 2 shown]
.LBB0_9:
	s_load_dwordx2 s[0:1], s[4:5], 0x28
	s_lshl_b64 s[4:5], s[14:15], 3
	v_mul_hi_u32 v3, 0x2d02d03, v0
	s_add_u32 s2, s18, s4
	s_addc_u32 s3, s19, s5
	v_mov_b32_e32 v15, 0
	s_load_dwordx2 s[2:3], s[2:3], 0x0
	v_mov_b32_e32 v10, 0
	v_mov_b32_e32 v14, 0
                                        ; implicit-def: $vgpr26
                                        ; implicit-def: $vgpr40
                                        ; implicit-def: $vgpr25
                                        ; implicit-def: $vgpr35
                                        ; implicit-def: $vgpr24
                                        ; implicit-def: $vgpr30
                                        ; implicit-def: $vgpr23
                                        ; implicit-def: $vgpr29
                                        ; implicit-def: $vgpr22
                                        ; implicit-def: $vgpr28
                                        ; implicit-def: $vgpr21
                                        ; implicit-def: $vgpr27
                                        ; implicit-def: $vgpr37
                                        ; implicit-def: $vgpr20
                                        ; implicit-def: $vgpr31
                                        ; implicit-def: $vgpr19
                                        ; implicit-def: $vgpr38
                                        ; implicit-def: $vgpr17
                                        ; implicit-def: $vgpr43
                                        ; implicit-def: $vgpr13
                                        ; implicit-def: $vgpr44
                                        ; implicit-def: $vgpr18
                                        ; implicit-def: $vgpr42
	v_mul_u32_u24_e32 v3, 0x5b, v3
	v_sub_nc_u32_e32 v4, v0, v3
	s_waitcnt lgkmcnt(0)
	v_cmp_gt_u64_e32 vcc_lo, s[0:1], v[11:12]
	s_and_saveexec_b32 s1, vcc_lo
	s_cbranch_execz .LBB0_13
; %bb.10:
	v_cmp_gt_u32_e64 s0, 0x4d, v4
	v_mov_b32_e32 v14, 0
	v_mov_b32_e32 v15, 0
                                        ; implicit-def: $vgpr42
                                        ; implicit-def: $vgpr18
                                        ; implicit-def: $vgpr44
                                        ; implicit-def: $vgpr13
                                        ; implicit-def: $vgpr43
                                        ; implicit-def: $vgpr17
                                        ; implicit-def: $vgpr38
                                        ; implicit-def: $vgpr19
                                        ; implicit-def: $vgpr31
                                        ; implicit-def: $vgpr20
                                        ; implicit-def: $vgpr37
                                        ; implicit-def: $vgpr27
                                        ; implicit-def: $vgpr21
                                        ; implicit-def: $vgpr28
                                        ; implicit-def: $vgpr22
                                        ; implicit-def: $vgpr29
                                        ; implicit-def: $vgpr23
                                        ; implicit-def: $vgpr30
                                        ; implicit-def: $vgpr24
                                        ; implicit-def: $vgpr35
                                        ; implicit-def: $vgpr25
                                        ; implicit-def: $vgpr40
                                        ; implicit-def: $vgpr26
	s_and_saveexec_b32 s6, s0
	s_cbranch_execz .LBB0_12
; %bb.11:
	s_add_u32 s4, s16, s4
	s_addc_u32 s5, s17, s5
	s_load_dwordx2 s[4:5], s[4:5], 0x0
	s_waitcnt lgkmcnt(0)
	v_mul_lo_u32 v0, s5, v11
	v_mul_lo_u32 v3, s4, v12
	v_mad_u64_u32 v[5:6], null, s4, v11, 0
	v_add3_u32 v6, v6, v3, v0
	v_lshlrev_b64 v[0:1], 2, v[1:2]
	v_lshlrev_b64 v[13:14], 2, v[5:6]
	v_mov_b32_e32 v5, 0
	v_lshlrev_b64 v[2:3], 2, v[4:5]
	v_add_co_u32 v6, s0, s8, v13
	v_add_co_ci_u32_e64 v10, s0, s9, v14, s0
	v_add_co_u32 v0, s0, v6, v0
	v_add_co_ci_u32_e64 v1, s0, v10, v1, s0
	;; [unrolled: 2-line block ×4, first 2 shown]
	s_clause 0xc
	global_load_dword v15, v[0:1], off
	global_load_dword v40, v[0:1], off offset:308
	global_load_dword v35, v[0:1], off offset:616
	;; [unrolled: 1-line block ×12, first 2 shown]
	s_waitcnt vmcnt(11)
	v_lshrrev_b32_e32 v26, 16, v40
	s_waitcnt vmcnt(10)
	v_lshrrev_b32_e32 v25, 16, v35
	s_waitcnt vmcnt(9)
	v_lshrrev_b32_e32 v24, 16, v30
	s_waitcnt vmcnt(8)
	v_lshrrev_b32_e32 v23, 16, v29
	s_waitcnt vmcnt(7)
	v_lshrrev_b32_e32 v22, 16, v28
	s_waitcnt vmcnt(6)
	v_lshrrev_b32_e32 v21, 16, v27
	s_waitcnt vmcnt(5)
	v_lshrrev_b32_e32 v20, 16, v31
	s_waitcnt vmcnt(4)
	v_lshrrev_b32_e32 v19, 16, v38
	s_waitcnt vmcnt(3)
	v_lshrrev_b32_e32 v18, 16, v42
	s_waitcnt vmcnt(2)
	v_lshrrev_b32_e32 v17, 16, v43
	s_waitcnt vmcnt(1)
	v_lshrrev_b32_e32 v13, 16, v44
	s_waitcnt vmcnt(0)
	v_perm_b32 v14, v15, v37, 0x7060302
.LBB0_12:
	s_or_b32 exec_lo, exec_lo, s6
	v_mov_b32_e32 v10, v4
.LBB0_13:
	s_or_b32 exec_lo, exec_lo, s1
	v_add_f16_e32 v61, v40, v44
	v_sub_f16_e32 v41, v26, v13
	v_add_f16_e32 v60, v35, v43
	v_sub_f16_e32 v45, v25, v17
	v_add_f16_e32 v59, v30, v42
	v_pk_mul_f16 v39, 0x388bb5ac, v61 op_sel_hi:[1,0]
	v_pk_mul_f16 v16, 0x2fb73b15, v61 op_sel_hi:[1,0]
	;; [unrolled: 1-line block ×4, first 2 shown]
	v_sub_f16_e32 v51, v24, v18
	v_pk_fma_f16 v5, 0xba95bb7b, v41, v39 op_sel_hi:[1,0,1]
	v_add_f16_e32 v64, v29, v38
	v_pk_fma_f16 v36, 0xbb7b394e, v45, v34 op_sel_hi:[1,0,1]
	v_pk_fma_f16 v0, 0xbbf1b770, v41, v16 op_sel_hi:[1,0,1]
	v_pk_mul_f16 v2, 0xbbc4388b, v60 op_sel_hi:[1,0]
	v_pk_add_f16 v5, v15, v5 op_sel_hi:[0,1]
	v_pk_mul_f16 v32, 0xbbc43b15, v59 op_sel_hi:[1,0]
	v_pk_mul_f16 v50, 0x2fb73b15, v60 op_sel_hi:[1,0]
	v_sub_f16_e32 v47, v23, v19
	v_add_f16_e32 v62, v28, v31
	v_pk_add_f16 v5, v36, v5
	v_pk_fma_f16 v36, 0xb94eb3a8, v41, v48 op_sel_hi:[1,0,1]
	v_pk_add_f16 v0, v15, v0 op_sel_hi:[0,1]
	v_pk_fma_f16 v3, 0xb3a8ba95, v45, v2 op_sel_hi:[1,0,1]
	v_pk_mul_f16 v1, 0xb5ac2fb7, v59 op_sel_hi:[1,0]
	v_pk_fma_f16 v53, 0xb3a83770, v51, v32 op_sel_hi:[1,0,1]
	v_pk_mul_f16 v46, 0xb9fd2fb7, v64 op_sel_hi:[1,0]
	v_pk_add_f16 v54, v15, v36 op_sel_hi:[0,1]
	v_pk_fma_f16 v55, 0x3bf13770, v45, v50 op_sel_hi:[1,0,1]
	v_pk_mul_f16 v52, 0x388bb9fd, v59 op_sel_hi:[1,0]
	v_sub_f16_e32 v49, v22, v20
	v_pk_add_f16 v3, v3, v0
	v_pk_fma_f16 v6, 0x3b7bbbf1, v51, v1 op_sel_hi:[1,0,1]
	v_pk_mul_f16 v0, 0x3b15b5ac, v64 op_sel_hi:[1,0]
	v_pk_add_f16 v5, v5, v53
	v_pk_fma_f16 v58, 0x394ebbf1, v47, v46 op_sel_hi:[1,0,1]
	v_pk_add_f16 v55, v55, v54
	v_pk_fma_f16 v56, 0xba95b94e, v51, v52 op_sel_hi:[1,0,1]
	v_pk_mul_f16 v54, 0xbbc4388b, v64 op_sel_hi:[1,0]
	v_pk_mul_f16 v53, 0x2fb7bbc4, v62 op_sel_hi:[1,0]
	v_add_f16_e32 v63, v27, v37
	v_pk_add_f16 v3, v3, v6
	v_pk_fma_f16 v6, 0x3770bb7b, v47, v0 op_sel_hi:[1,0,1]
	v_pk_mul_f16 v33, 0x388bb9fd, v62 op_sel_hi:[1,0]
	v_pk_add_f16 v65, v55, v56
	v_pk_fma_f16 v66, 0x33a83a95, v47, v54 op_sel_hi:[1,0,1]
	v_pk_mul_f16 v56, 0x3b15b5ac, v62 op_sel_hi:[1,0]
	v_pk_add_f16 v5, v58, v5
	v_pk_fma_f16 v58, 0x3bf133a8, v49, v53 op_sel_hi:[1,0,1]
	v_and_b32_e32 v7, 1, v7
	v_sub_f16_e32 v57, v21, v14
	v_pk_add_f16 v3, v6, v3
	v_pk_fma_f16 v6, 0xba95b94e, v49, v33 op_sel_hi:[1,0,1]
	v_pk_mul_f16 v36, 0xb9fdbbc4, v63 op_sel_hi:[1,0]
	v_pk_mul_f16 v55, 0x3b15388b, v63 op_sel_hi:[1,0]
	v_pk_add_f16 v65, v66, v65
	v_pk_fma_f16 v66, 0x3770bb7b, v49, v56 op_sel_hi:[1,0,1]
	v_pk_add_f16 v5, v58, v5
	v_pk_mul_f16 v58, 0xb5ac2fb7, v63 op_sel_hi:[1,0]
	v_cmp_eq_u32_e64 s0, 1, v7
	v_pk_add_f16 v3, v6, v3
	v_pk_fma_f16 v6, 0xb94eb3a8, v57, v36 op_sel_hi:[1,0,1]
	v_pk_fma_f16 v67, 0x37703a95, v57, v55 op_sel_hi:[1,0,1]
	v_pk_add_f16 v65, v66, v65
	v_cndmask_b32_e64 v66, 0, 0x3e9, s0
	v_pk_fma_f16 v68, 0xbb7b3bf1, v57, v58 op_sel_hi:[1,0,1]
	v_pk_add_f16 v6, v6, v3
	v_pk_add_f16 v7, v67, v5
	v_cmp_gt_u32_e64 s1, 0x4d, v4
	v_lshlrev_b32_e32 v5, 1, v66
	v_pk_add_f16 v3, v68, v65
	s_and_saveexec_b32 s0, s1
	s_cbranch_execz .LBB0_15
; %bb.14:
	v_add_f16_e32 v65, v15, v40
	v_pack_b32_f16 v66, v41, v41
	v_pk_mul_f16 v67, 0xbbf1b770, v41 op_sel_hi:[1,0]
	v_pk_mul_f16 v78, 0xba95bb7b, v41 op_sel_hi:[1,0]
	v_pack_b32_f16 v61, v61, v61
	v_add_f16_e32 v65, v65, v35
	v_pk_mul_f16 v69, 0xb3a8ba95, v45 op_sel_hi:[1,0]
	v_pk_mul_f16 v79, 0xbb7b394e, v45 op_sel_hi:[1,0]
	;; [unrolled: 1-line block ×3, first 2 shown]
	v_pk_mul_f16 v66, 0x3a953770, v66
	v_add_f16_e32 v65, v65, v30
	v_alignbit_b32 v16, v39, v16, 16
	v_alignbit_b32 v39, v78, v67, 16
	v_perm_b32 v15, v15, v15, 0x5040100
	v_pack_b32_f16 v68, v45, v45
	v_add_f16_e32 v65, v65, v29
	v_pk_mul_f16 v71, 0x3b7bbbf1, v51 op_sel_hi:[1,0]
	v_pk_mul_f16 v80, 0xb3a83770, v51 op_sel_hi:[1,0]
	;; [unrolled: 1-line block ×3, first 2 shown]
	v_pk_fma_f16 v61, 0x388b3b15, v61, v66
	v_add_f16_e32 v65, v65, v28
	v_pk_add_f16 v16, v16, v39 neg_lo:[0,1] neg_hi:[0,1]
	v_alignbit_b32 v2, v34, v2, 16
	v_alignbit_b32 v34, v79, v69, 16
	v_pk_add_f16 v41, v48, v41 neg_lo:[0,1] neg_hi:[0,1]
	v_add_f16_e32 v65, v65, v27
	v_pack_b32_f16 v60, v60, v60
	v_pack_b32_f16 v70, v51, v51
	v_pk_mul_f16 v51, 0xba95b94e, v51 op_sel_hi:[1,0]
	v_pk_mul_f16 v68, 0x3b7b3a95, v68
	v_pk_add_f16 v61, v15, v61
	v_pk_add_f16 v16, v15, v16
	v_pk_add_f16 v2, v2, v34 neg_lo:[0,1] neg_hi:[0,1]
	v_alignbit_b32 v1, v32, v1, 16
	v_alignbit_b32 v32, v80, v71, 16
	v_pk_add_f16 v15, v15, v41
	v_pk_add_f16 v34, v50, v45 neg_lo:[0,1] neg_hi:[0,1]
	v_add_f16_e32 v65, v65, v37
	v_pack_b32_f16 v59, v59, v59
	v_pack_b32_f16 v72, v47, v47
	v_pk_mul_f16 v73, 0x3770bb7b, v47 op_sel_hi:[1,0]
	v_pk_mul_f16 v81, 0x394ebbf1, v47 op_sel_hi:[1,0]
	;; [unrolled: 1-line block ×3, first 2 shown]
	v_pk_fma_f16 v60, 0xb5ac388b, v60, v68
	v_pk_mul_f16 v68, 0x33a83bf1, v70
	v_pk_add_f16 v2, v2, v16
	v_pk_add_f16 v1, v1, v32 neg_lo:[0,1] neg_hi:[0,1]
	v_pk_add_f16 v15, v34, v15
	v_pk_add_f16 v16, v52, v51 neg_lo:[0,1] neg_hi:[0,1]
	v_add_f16_e32 v65, v65, v31
	v_pack_b32_f16 v64, v64, v64
	v_pack_b32_f16 v74, v49, v49
	v_pk_mul_f16 v75, 0xba95b94e, v49 op_sel_hi:[1,0]
	v_pk_mul_f16 v82, 0x3bf133a8, v49 op_sel_hi:[1,0]
	;; [unrolled: 1-line block ×3, first 2 shown]
	v_pk_add_f16 v60, v60, v61
	v_pk_fma_f16 v59, 0xbbc42fb7, v59, v68
	v_pk_mul_f16 v61, 0xb94e3b7b, v72
	v_alignbit_b32 v0, v46, v0, 16
	v_alignbit_b32 v32, v81, v73, 16
	v_pk_add_f16 v1, v2, v1
	v_pk_add_f16 v2, v15, v16
	v_pk_add_f16 v15, v54, v47 neg_lo:[0,1] neg_hi:[0,1]
	v_add_f16_e32 v65, v65, v38
	v_pack_b32_f16 v62, v62, v62
	v_pack_b32_f16 v76, v57, v57
	v_pk_mul_f16 v77, 0xb94eb3a8, v57 op_sel_hi:[1,0]
	v_pk_mul_f16 v83, 0x37703a95, v57 op_sel_hi:[1,0]
	;; [unrolled: 1-line block ×3, first 2 shown]
	v_pk_add_f16 v39, v60, v59
	v_pk_fma_f16 v59, 0xb9fdb5ac, v64, v61
	v_pk_mul_f16 v41, 0xbbf1394e, v74
	v_pk_add_f16 v0, v0, v32 neg_lo:[0,1] neg_hi:[0,1]
	v_alignbit_b32 v16, v53, v33, 16
	v_alignbit_b32 v32, v82, v75, 16
	v_pk_add_f16 v2, v15, v2
	v_pk_add_f16 v15, v56, v49 neg_lo:[0,1] neg_hi:[0,1]
	v_add_f16_e32 v65, v65, v42
	v_pack_b32_f16 v63, v63, v63
	v_pk_add_f16 v39, v59, v39
	v_pk_fma_f16 v34, 0x2fb7b9fd, v62, v41
	v_pk_mul_f16 v33, 0xb77033a8, v76
	v_pk_add_f16 v0, v0, v1
	v_pk_add_f16 v1, v16, v32 neg_lo:[0,1] neg_hi:[0,1]
	v_alignbit_b32 v16, v55, v36, 16
	v_alignbit_b32 v32, v83, v77, 16
	v_pk_add_f16 v2, v15, v2
	v_pk_add_f16 v15, v58, v57 neg_lo:[0,1] neg_hi:[0,1]
	v_mul_u32_u24_e32 v66, 26, v4
	v_add_f16_e32 v65, v43, v65
	v_pk_add_f16 v34, v34, v39
	v_pk_fma_f16 v33, 0x3b15bbc4, v63, v33
	v_pk_add_f16 v1, v1, v0
	v_pk_add_f16 v16, v16, v32 neg_lo:[0,1] neg_hi:[0,1]
	v_pk_add_f16 v2, v15, v2
	v_add_f16_e32 v32, v44, v65
	v_add3_u32 v36, 0, v66, v5
	v_pk_add_f16 v0, v33, v34
	v_pk_add_f16 v1, v16, v1
	v_alignbit_b32 v2, v2, v2, 16
	v_bfi_b32 v15, 0xffff, v7, v6
	v_alignbit_b32 v16, v6, v7, 16
	ds_write_b16 v36, v32
	ds_write_b128 v36, v[0:3] offset:2
	ds_write_b64 v36, v[15:16] offset:18
.LBB0_15:
	s_or_b32 exec_lo, exec_lo, s0
	v_lshlrev_b32_e32 v0, 1, v4
	s_waitcnt lgkmcnt(0)
	s_barrier
	buffer_gl0_inv
	v_cmp_gt_u32_e64 s0, 52, v4
	v_add_nc_u32_e32 v45, 0, v0
	v_add3_u32 v15, 0, v5, v0
                                        ; implicit-def: $vgpr2
	v_add_nc_u32_e32 v16, v45, v5
	ds_read_u16 v1, v15
	ds_read_u16 v41, v16 offset:286
	ds_read_u16 v39, v16 offset:572
	ds_read_u16 v36, v16 offset:858
	ds_read_u16 v34, v16 offset:1144
	ds_read_u16 v33, v16 offset:1430
	ds_read_u16 v32, v16 offset:1716
	s_and_saveexec_b32 s4, s0
	s_cbranch_execz .LBB0_17
; %bb.16:
	ds_read_u16 v3, v16 offset:182
	ds_read_u16 v6, v16 offset:1612
	;; [unrolled: 1-line block ×3, first 2 shown]
	s_waitcnt lgkmcnt(2)
	ds_read_u16_d16_hi v3, v16 offset:468
	s_waitcnt lgkmcnt(2)
	ds_read_u16_d16_hi v6, v16 offset:1040
	;; [unrolled: 2-line block ×3, first 2 shown]
	ds_read_u16 v2, v16 offset:1898
.LBB0_17:
	s_or_b32 exec_lo, exec_lo, s4
	v_sub_f16_e32 v61, v40, v44
	v_add_f16_e32 v44, v26, v13
	v_sub_f16_e32 v60, v35, v43
	v_add_f16_e32 v40, v25, v17
	v_sub_f16_e32 v63, v30, v42
	v_pk_mul_f16 v43, 0xb770ba95, v61 op_sel_hi:[1,0]
	v_add_f16_e32 v35, v24, v18
	v_pk_mul_f16 v57, 0xba95bb7b, v60 op_sel_hi:[1,0]
	v_sub_f16_e32 v62, v29, v38
	v_sub_f16_e32 v64, v28, v31
	v_pk_fma_f16 v0, 0x3b15388b, v44, v43 op_sel_hi:[1,0,1] neg_lo:[0,0,1] neg_hi:[0,0,1]
	v_pk_mul_f16 v58, 0xbbf1b3a8, v63 op_sel_hi:[1,0]
	v_pk_fma_f16 v28, 0x388bb5ac, v40, v57 op_sel_hi:[1,0,1] neg_lo:[0,0,1] neg_hi:[0,0,1]
	v_add_f16_e32 v42, v23, v19
	v_sub_f16_e32 v65, v27, v37
	v_pk_add_f16 v0, v14, v0 op_sel:[1,0]
	v_pk_mul_f16 v59, 0xbb7b394e, v62 op_sel_hi:[1,0]
	v_pk_fma_f16 v27, 0x2fb7bbc4, v35, v58 op_sel_hi:[1,0,1] neg_lo:[0,0,1] neg_hi:[0,0,1]
	v_add_f16_e32 v38, v22, v20
	v_pk_mul_f16 v56, 0xb94e3bf1, v64 op_sel_hi:[1,0]
	v_pk_add_f16 v0, v28, v0
	v_pk_mul_f16 v30, 0xb94ebbf1, v61 op_sel_hi:[1,0]
	v_pk_fma_f16 v28, 0xb5acb9fd, v42, v59 op_sel_hi:[1,0,1] neg_lo:[0,0,1] neg_hi:[0,0,1]
	v_pk_mul_f16 v54, 0xbb7bb3a8, v61 op_sel_hi:[1,0]
	v_pk_mul_f16 v29, 0x3bf1b3a8, v60 op_sel_hi:[1,0]
	v_pk_add_f16 v0, v0, v27
	v_pk_fma_f16 v27, 0xb9fd2fb7, v38, v56 op_sel_hi:[1,0,1] neg_lo:[0,0,1] neg_hi:[0,0,1]
	v_pk_fma_f16 v37, 0xb9fd2fb7, v44, v30 op_sel_hi:[1,0,1] neg_lo:[0,0,1] neg_hi:[0,0,1]
	v_pk_mul_f16 v51, 0x394e3770, v60 op_sel_hi:[1,0]
	v_pk_fma_f16 v46, 0x2fb7bbc4, v40, v29 op_sel_hi:[1,0,1] neg_lo:[0,0,1] neg_hi:[0,0,1]
	v_pk_add_f16 v0, v28, v0
	v_pk_fma_f16 v28, 0xb5acbbc4, v44, v54 op_sel_hi:[1,0,1] neg_lo:[0,0,1] neg_hi:[0,0,1]
	v_pk_add_f16 v37, v14, v37 op_sel:[1,0]
	v_pk_mul_f16 v48, 0xba953b7b, v63 op_sel_hi:[1,0]
	v_pk_mul_f16 v53, 0x3770b94e, v63 op_sel_hi:[1,0]
	v_pk_add_f16 v0, v27, v0
	v_pk_add_f16 v27, v14, v28 op_sel:[1,0]
	v_pk_fma_f16 v28, 0xb9fd3b15, v40, v51 op_sel_hi:[1,0,1] neg_lo:[0,0,1] neg_hi:[0,0,1]
	v_pk_add_f16 v37, v46, v37
	v_pk_fma_f16 v46, 0x388bb5ac, v35, v48 op_sel_hi:[1,0,1] neg_lo:[0,0,1] neg_hi:[0,0,1]
	v_pk_mul_f16 v47, 0x33a83770, v62 op_sel_hi:[1,0]
	v_pk_mul_f16 v52, 0xbbf13a95, v62 op_sel_hi:[1,0]
	v_pk_add_f16 v27, v28, v27
	v_pk_fma_f16 v28, 0x3b15b9fd, v35, v53 op_sel_hi:[1,0,1] neg_lo:[0,0,1] neg_hi:[0,0,1]
	v_pk_add_f16 v37, v37, v46
	v_pk_fma_f16 v49, 0xbbc43b15, v42, v47 op_sel_hi:[1,0,1] neg_lo:[0,0,1] neg_hi:[0,0,1]
	v_pk_mul_f16 v46, 0x3770ba95, v64 op_sel_hi:[1,0]
	v_pk_mul_f16 v50, 0x33a8bb7b, v64 op_sel_hi:[1,0]
	v_pk_add_f16 v27, v27, v28
	v_pk_fma_f16 v28, 0x2fb7388b, v42, v52 op_sel_hi:[1,0,1] neg_lo:[0,0,1] neg_hi:[0,0,1]
	v_add_f16_e32 v31, v21, v14
	v_pk_mul_f16 v55, 0xb3a83770, v65 op_sel_hi:[1,0]
	v_pk_add_f16 v66, v49, v37
	v_pk_fma_f16 v67, 0x3b15388b, v38, v46 op_sel_hi:[1,0,1] neg_lo:[0,0,1] neg_hi:[0,0,1]
	v_pk_mul_f16 v37, 0xbb7bb94e, v65 op_sel_hi:[1,0]
	v_pk_add_f16 v27, v28, v27
	v_pk_fma_f16 v28, 0xbbc4b5ac, v38, v50 op_sel_hi:[1,0,1] neg_lo:[0,0,1] neg_hi:[0,0,1]
	v_pk_mul_f16 v49, 0x3a953bf1, v65 op_sel_hi:[1,0]
	v_pk_fma_f16 v68, 0xbbc43b15, v31, v55 op_sel_hi:[1,0,1] neg_lo:[0,0,1] neg_hi:[0,0,1]
	v_pk_add_f16 v66, v67, v66
	v_pk_fma_f16 v67, 0xb5acb9fd, v31, v37 op_sel_hi:[1,0,1] neg_lo:[0,0,1] neg_hi:[0,0,1]
	v_pk_add_f16 v69, v28, v27
	v_pk_fma_f16 v70, 0x388b2fb7, v31, v49 op_sel_hi:[1,0,1] neg_lo:[0,0,1] neg_hi:[0,0,1]
	v_pk_add_f16 v28, v68, v0
	s_waitcnt lgkmcnt(0)
	v_pk_add_f16 v27, v67, v66
	s_barrier
	v_pk_add_f16 v0, v70, v69
	buffer_gl0_inv
	s_and_saveexec_b32 s4, s1
	s_cbranch_execz .LBB0_19
; %bb.18:
	v_add_f16_sdwa v26, v14, v26 dst_sel:DWORD dst_unused:UNUSED_PAD src0_sel:WORD_1 src1_sel:DWORD
	v_pk_mul_f16 v67, 0x3b15388b, v44 op_sel_hi:[1,0]
	v_pk_mul_f16 v69, 0x388bb5ac, v40 op_sel_hi:[1,0]
	v_bfi_b32 v21, 0xffff, v21, v43
	v_pk_mul_f16 v72, 0xb5acb9fd, v42 op_sel_hi:[1,0]
	v_add_f16_e32 v25, v26, v25
	v_pk_mul_f16 v73, 0xb9fd2fb7, v38 op_sel_hi:[1,0]
	v_pk_add_f16 v57, v69, v57
	v_perm_b32 v68, v14, v14, 0x7060302
	v_pk_add_f16 v59, v72, v59
	v_add_f16_e32 v24, v25, v24
	v_pk_mul_f16 v25, 0x2fb7bbc4, v35 op_sel_hi:[1,0]
	v_bfi_b32 v20, 0xffff, v20, v57
	v_pack_b32_f16 v66, v44, v44
	v_bfi_b32 v18, 0xffff, v18, v59
	v_add_f16_e32 v23, v24, v23
	v_pk_add_f16 v25, v25, v58
	v_pk_mul_f16 v75, 0xb9fd2fb7, v44 op_sel_hi:[1,0]
	v_pk_mul_f16 v44, 0xb5acbbc4, v44 op_sel_hi:[1,0]
	v_pack_b32_f16 v61, v61, v61
	v_add_f16_e32 v22, v23, v22
	v_bfi_b32 v19, 0xffff, v19, v25
	v_pack_b32_f16 v26, v40, v40
	v_pk_mul_f16 v76, 0x2fb7bbc4, v40 op_sel_hi:[1,0]
	v_pk_mul_f16 v40, 0xb9fd3b15, v40 op_sel_hi:[1,0]
	v_bfi_b32 v22, 0xffff, v22, v67
	v_alignbit_b32 v30, v54, v30, 16
	v_pack_b32_f16 v60, v60, v60
	v_pk_mul_f16 v77, 0x388bb5ac, v35 op_sel_hi:[1,0]
	v_alignbit_b32 v29, v51, v29, 16
	v_pk_add_f16 v21, v22, v21
	v_pack_b32_f16 v63, v63, v63
	v_pack_b32_f16 v24, v62, v62
	;; [unrolled: 1-line block ×3, first 2 shown]
	v_pk_mul_f16 v69, 0x3b15388b, v38 op_sel_hi:[1,0]
	v_pk_add_f16 v21, v21, v14
	v_pk_mul_f16 v22, 0xbbc43b15, v42 op_sel_hi:[1,0]
	v_pack_b32_f16 v70, v35, v35
	v_pack_b32_f16 v71, v42, v42
	v_pack_b32_f16 v64, v64, v64
	v_pk_add_f16 v20, v21, v20
	v_add_f16_e32 v21, v67, v43
	v_pk_add_f16 v43, v73, v56
	v_pk_mul_f16 v24, 0xbbf13770, v24
	v_pack_b32_f16 v23, v31, v31
	v_pk_add_f16 v19, v20, v19
	v_add_f16_sdwa v14, v14, v21 dst_sel:DWORD dst_unused:UNUSED_PAD src0_sel:WORD_1 src1_sel:DWORD
	v_bfi_b32 v17, 0xffff, v17, v43
	v_pk_mul_f16 v20, 0x3b15b9fd, v35 op_sel_hi:[1,0]
	v_pk_mul_f16 v21, 0x2fb7388b, v42 op_sel_hi:[1,0]
	v_pk_add_f16 v18, v19, v18
	v_add_f16_e32 v14, v57, v14
	v_pk_mul_f16 v19, 0xbbc4b5ac, v38 op_sel_hi:[1,0]
	v_pk_mul_f16 v38, 0x394eb3a8, v60
	v_alignbit_b32 v20, v20, v77, 16
	v_pk_add_f16 v17, v17, v18
	v_add_f16_e32 v14, v14, v25
	v_alignbit_b32 v25, v44, v75, 16
	v_pk_mul_f16 v18, 0xbb7bbbf1, v61
	v_pk_fma_f16 v26, 0xb9fdbbc4, v26, v38
	v_pk_mul_f16 v38, 0x37703b7b, v63
	v_alignbit_b32 v21, v21, v22, 16
	v_pk_add_f16 v25, v25, v30
	v_alignbit_b32 v30, v40, v76, 16
	v_pk_fma_f16 v18, 0xb5ac2fb7, v66, v18
	v_alignbit_b32 v22, v52, v47, 16
	v_pk_mul_f16 v74, 0xbbc43b15, v31 op_sel_hi:[1,0]
	v_pk_add_f16 v25, v68, v25
	v_pk_add_f16 v29, v30, v29
	v_alignbit_b32 v30, v53, v48, 16
	v_pk_add_f16 v18, v68, v18
	v_pk_mul_f16 v58, 0xb5acb9fd, v31 op_sel_hi:[1,0]
	v_pk_mul_f16 v31, 0x388b2fb7, v31 op_sel_hi:[1,0]
	v_pk_add_f16 v25, v29, v25
	v_pk_add_f16 v20, v20, v30
	v_pk_add_f16 v18, v26, v18
	v_pk_fma_f16 v26, 0x3b15b5ac, v70, v38
	v_pk_add_f16 v21, v21, v22
	v_alignbit_b32 v19, v19, v69, 16
	v_pk_add_f16 v20, v25, v20
	v_alignbit_b32 v22, v50, v46, 16
	v_pack_b32_f16 v65, v65, v65
	v_pk_add_f16 v18, v18, v26
	v_pk_fma_f16 v24, 0x2fb73b15, v71, v24
	v_pk_mul_f16 v26, 0x33a8ba95, v64
	v_pk_add_f16 v35, v74, v55
	v_pk_add_f16 v20, v21, v20
	;; [unrolled: 1-line block ×3, first 2 shown]
	v_alignbit_b32 v21, v31, v58, 16
	v_alignbit_b32 v22, v49, v37, 16
	v_add_f16_e32 v14, v59, v14
	v_pk_add_f16 v18, v24, v18
	v_pk_fma_f16 v24, 0xbbc4388b, v62, v26
	v_pk_mul_f16 v25, 0x3a95b94e, v65
	v_bfi_b32 v13, 0xffff, v13, v35
	v_pk_add_f16 v19, v19, v20
	v_pk_add_f16 v20, v21, v22
	v_mul_u32_u24_e32 v21, 24, v4
	v_add_f16_e32 v14, v43, v14
	v_pk_add_f16 v18, v24, v18
	v_pk_fma_f16 v23, 0x388bb9fd, v23, v25
	v_pk_add_f16 v13, v13, v17
	v_add3_u32 v21, v45, v21, v5
	v_add_f16_e32 v14, v35, v14
	v_pk_add_f16 v17, v23, v18
	v_pk_add_f16 v18, v20, v19
	v_bfi_b32 v19, 0xffff, v0, v27
	v_alignbit_b32 v20, v27, v0, 16
	ds_write_b32 v21, v13
	ds_write_b16 v21, v14 offset:4
	ds_write_b128 v21, v[17:20] offset:6
	ds_write_b32 v21, v28 offset:22
.LBB0_19:
	s_or_b32 exec_lo, exec_lo, s4
	s_waitcnt lgkmcnt(0)
	s_barrier
	buffer_gl0_inv
	ds_read_u16 v14, v15
	ds_read_u16 v23, v16 offset:286
	ds_read_u16 v22, v16 offset:572
	;; [unrolled: 1-line block ×6, first 2 shown]
                                        ; implicit-def: $vgpr17
	s_and_saveexec_b32 s1, s0
	s_cbranch_execz .LBB0_21
; %bb.20:
	ds_read_u16 v27, v16 offset:1040
	ds_read_u16 v0, v16 offset:182
	;; [unrolled: 1-line block ×4, first 2 shown]
	s_waitcnt lgkmcnt(3)
	ds_read_u16_d16_hi v27, v16 offset:468
	s_waitcnt lgkmcnt(3)
	ds_read_u16_d16_hi v0, v16 offset:754
	;; [unrolled: 2-line block ×3, first 2 shown]
.LBB0_21:
	s_or_b32 exec_lo, exec_lo, s1
	v_and_b32_e32 v13, 0xff, v4
	v_add_nc_u16 v26, v4, 0x5b
	v_mov_b32_e32 v25, 6
	s_waitcnt lgkmcnt(2)
	v_lshrrev_b32_e32 v56, 16, v27
	v_lshrrev_b32_e32 v58, 16, v6
	v_mul_lo_u16 v13, 0x4f, v13
	v_lshrrev_b32_e32 v55, 16, v3
	s_waitcnt lgkmcnt(1)
	v_lshrrev_b32_e32 v57, 16, v0
	s_waitcnt lgkmcnt(0)
	v_lshrrev_b32_e32 v60, 16, v28
	v_lshrrev_b32_e32 v59, 16, v7
	v_lshrrev_b16 v24, 10, v13
	v_mul_lo_u16 v13, v24, 13
	v_sub_nc_u16 v29, v4, v13
	v_and_b32_e32 v13, 0xff, v26
	v_mul_u32_u24_sdwa v30, v29, v25 dst_sel:DWORD dst_unused:UNUSED_PAD src0_sel:BYTE_0 src1_sel:DWORD
	v_mul_lo_u16 v13, 0x4f, v13
	v_lshlrev_b32_e32 v30, 2, v30
	v_lshrrev_b16 v31, 10, v13
	s_clause 0x1
	global_load_dwordx4 v[45:48], v30, s[12:13]
	global_load_dwordx2 v[37:38], v30, s[12:13] offset:16
	v_mul_lo_u16 v13, v31, 13
	v_sub_nc_u16 v13, v26, v13
	v_mul_u32_u24_sdwa v25, v13, v25 dst_sel:DWORD dst_unused:UNUSED_PAD src0_sel:BYTE_0 src1_sel:DWORD
	v_lshlrev_b32_e32 v25, 2, v25
	s_clause 0x1
	global_load_dwordx4 v[49:52], v25, s[12:13]
	global_load_dwordx2 v[53:54], v25, s[12:13] offset:16
	v_and_b32_e32 v25, 0xffff, v24
	v_mov_b32_e32 v24, 1
	s_waitcnt vmcnt(0)
	s_barrier
	buffer_gl0_inv
	v_mad_u32_u24 v25, 0xb6, v25, 0
	v_lshlrev_b32_sdwa v26, v24, v29 dst_sel:DWORD dst_unused:UNUSED_PAD src0_sel:DWORD src1_sel:BYTE_0
	v_and_b32_e32 v29, 0xffff, v31
	v_add3_u32 v30, v25, v26, v5
	v_mul_f16_sdwa v31, v23, v45 dst_sel:DWORD dst_unused:UNUSED_PAD src0_sel:DWORD src1_sel:WORD_1
	v_mul_f16_sdwa v26, v41, v45 dst_sel:DWORD dst_unused:UNUSED_PAD src0_sel:DWORD src1_sel:WORD_1
	;; [unrolled: 1-line block ×12, first 2 shown]
	v_fma_f16 v41, v41, v45, -v31
	v_fmac_f16_e32 v26, v23, v45
	v_fma_f16 v23, v39, v46, -v35
	v_fmac_f16_e32 v42, v20, v48
	;; [unrolled: 2-line block ×4, first 2 shown]
	v_fmac_f16_e32 v40, v22, v46
	v_mul_f16_sdwa v18, v56, v49 dst_sel:DWORD dst_unused:UNUSED_PAD src0_sel:DWORD src1_sel:WORD_1
	v_mul_f16_sdwa v31, v58, v51 dst_sel:DWORD dst_unused:UNUSED_PAD src0_sel:DWORD src1_sel:WORD_1
	v_fma_f16 v22, v36, v47, -v61
	v_fmac_f16_e32 v25, v21, v47
	v_fma_f16 v21, v34, v48, -v62
	v_mul_f16_sdwa v37, v57, v50 dst_sel:DWORD dst_unused:UNUSED_PAD src0_sel:DWORD src1_sel:WORD_1
	v_mul_f16_sdwa v38, v27, v51 dst_sel:DWORD dst_unused:UNUSED_PAD src0_sel:DWORD src1_sel:WORD_1
	;; [unrolled: 1-line block ×5, first 2 shown]
	v_fma_f16 v36, v55, v49, -v18
	v_fmac_f16_e32 v31, v27, v51
	v_add_f16_e32 v18, v41, v19
	v_add_f16_e32 v27, v23, v20
	v_mul_f16_sdwa v34, v59, v52 dst_sel:DWORD dst_unused:UNUSED_PAD src0_sel:DWORD src1_sel:WORD_1
	v_mul_f16_sdwa v32, v55, v49 dst_sel:DWORD dst_unused:UNUSED_PAD src0_sel:DWORD src1_sel:WORD_1
	;; [unrolled: 1-line block ×5, first 2 shown]
	v_fma_f16 v7, v7, v50, -v37
	v_fma_f16 v37, v58, v51, -v38
	;; [unrolled: 1-line block ×5, first 2 shown]
	v_add_f16_e32 v45, v22, v21
	v_sub_f16_e32 v46, v40, v43
	v_sub_f16_e32 v47, v42, v25
	v_add_f16_e32 v48, v27, v18
	v_fmac_f16_e32 v34, v28, v52
	v_sub_f16_e32 v28, v26, v44
	v_fmac_f16_e32 v32, v56, v49
	v_fmac_f16_e32 v33, v57, v50
	v_sub_f16_e32 v49, v27, v18
	v_sub_f16_e32 v18, v18, v45
	v_sub_f16_e32 v27, v45, v27
	v_add_f16_e32 v50, v47, v46
	v_sub_f16_e32 v51, v47, v46
	v_add_f16_e32 v45, v45, v48
	v_sub_f16_e32 v46, v46, v28
	v_sub_f16_e32 v47, v28, v47
	v_add_f16_e32 v28, v50, v28
	v_mul_f16_e32 v18, 0x3a52, v18
	v_mul_f16_e32 v50, 0xb846, v51
	v_add_f16_e32 v1, v1, v45
	v_mul_f16_e32 v51, 0x3b00, v46
	v_mul_f16_e32 v48, 0x2b26, v27
	v_fmamk_f16 v27, v27, 0x2b26, v18
	v_fmamk_f16 v52, v47, 0x3574, v50
	;; [unrolled: 1-line block ×3, first 2 shown]
	v_fma_f16 v47, v47, 0xb574, -v51
	v_fma_f16 v18, v49, 0xb9e0, -v18
	;; [unrolled: 1-line block ×4, first 2 shown]
	v_fmac_f16_e32 v52, 0x370e, v28
	v_add_f16_e32 v27, v27, v45
	v_fmac_f16_e32 v47, 0x370e, v28
	v_add_f16_e32 v18, v18, v45
	;; [unrolled: 2-line block ×3, first 2 shown]
	v_fmac_f16_e32 v35, v60, v53
	v_fmac_f16_e32 v39, v17, v54
	ds_write_b16 v30, v1
	v_add_f16_e32 v1, v52, v27
	v_add_f16_e32 v17, v47, v18
	v_sub_f16_e32 v45, v28, v46
	v_add_f16_e32 v28, v46, v28
	v_sub_f16_e32 v18, v18, v47
	v_sub_f16_e32 v27, v27, v52
	ds_write_b16 v30, v1 offset:26
	ds_write_b16 v30, v17 offset:52
	;; [unrolled: 1-line block ×6, first 2 shown]
	s_and_saveexec_b32 s1, s0
	s_cbranch_execz .LBB0_23
; %bb.22:
	v_add_f16_e32 v1, v36, v2
	v_add_f16_e32 v17, v7, v6
	;; [unrolled: 1-line block ×3, first 2 shown]
	v_sub_f16_e32 v28, v34, v31
	v_sub_f16_e32 v46, v33, v35
	;; [unrolled: 1-line block ×3, first 2 shown]
	v_add_f16_e32 v45, v17, v1
	v_sub_f16_e32 v47, v1, v18
	v_sub_f16_e32 v48, v18, v17
	;; [unrolled: 1-line block ×4, first 2 shown]
	v_add_f16_e32 v18, v18, v45
	v_sub_f16_e32 v45, v28, v46
	v_add_f16_e32 v28, v28, v46
	v_sub_f16_e32 v46, v46, v27
	v_mul_f16_e32 v47, 0x3a52, v47
	v_add_f16_e32 v3, v3, v18
	v_mul_f16_e32 v45, 0xb846, v45
	v_add_f16_e32 v27, v28, v27
	v_mul_f16_e32 v17, 0x3b00, v46
	v_fmamk_f16 v50, v48, 0x2b26, v47
	v_fma_f16 v28, v1, 0xb9e0, -v47
	v_mul_f16_e32 v47, 0x2b26, v48
	v_fmamk_f16 v18, v18, 0xbcab, v3
	v_fmamk_f16 v51, v49, 0x3574, v45
	v_fma_f16 v17, v49, 0xb574, -v17
	v_fma_f16 v45, v46, 0x3b00, -v45
	v_fma_f16 v1, v1, 0x39e0, -v47
	v_mad_u32_u24 v46, 0xb6, v29, 0
	v_lshlrev_b32_sdwa v24, v24, v13 dst_sel:DWORD dst_unused:UNUSED_PAD src0_sel:DWORD src1_sel:BYTE_0
	v_add_f16_e32 v48, v50, v18
	v_fmac_f16_e32 v51, 0x370e, v27
	v_add_f16_e32 v28, v28, v18
	v_fmac_f16_e32 v17, 0x370e, v27
	v_fmac_f16_e32 v45, 0x370e, v27
	v_add_f16_e32 v1, v1, v18
	v_add3_u32 v24, v46, v24, v5
	v_add_f16_e32 v27, v51, v48
	v_sub_f16_e32 v18, v28, v17
	v_add_f16_e32 v17, v17, v28
	v_sub_f16_e32 v28, v1, v45
	;; [unrolled: 2-line block ×3, first 2 shown]
	ds_write_b16 v24, v3
	ds_write_b16 v24, v27 offset:26
	ds_write_b16 v24, v17 offset:52
	ds_write_b16 v24, v28 offset:78
	ds_write_b16 v24, v1 offset:104
	ds_write_b16 v24, v18 offset:130
	ds_write_b16 v24, v47 offset:156
.LBB0_23:
	s_or_b32 exec_lo, exec_lo, s1
	v_add_f16_e32 v1, v26, v44
	v_add_f16_e32 v3, v40, v43
	v_sub_f16_e32 v17, v41, v19
	v_add_f16_e32 v18, v25, v42
	v_sub_f16_e32 v19, v23, v20
	v_sub_f16_e32 v20, v21, v22
	v_add_f16_e32 v21, v3, v1
	v_sub_f16_e32 v22, v3, v1
	v_sub_f16_e32 v1, v1, v18
	;; [unrolled: 1-line block ×3, first 2 shown]
	v_add_f16_e32 v23, v20, v19
	v_add_f16_e32 v18, v18, v21
	v_sub_f16_e32 v21, v20, v19
	v_sub_f16_e32 v20, v17, v20
	v_sub_f16_e32 v19, v19, v17
	v_add_f16_e32 v28, v23, v17
	v_add_f16_e32 v14, v14, v18
	v_mul_f16_e32 v1, 0x3a52, v1
	v_mul_f16_e32 v17, 0x2b26, v3
	;; [unrolled: 1-line block ×4, first 2 shown]
	v_fmamk_f16 v18, v18, 0xbcab, v14
	v_fmamk_f16 v3, v3, 0x2b26, v1
	v_fma_f16 v17, v22, 0x39e0, -v17
	v_fma_f16 v1, v22, 0xb9e0, -v1
	v_fmamk_f16 v40, v20, 0x3574, v21
	v_fma_f16 v41, v19, 0x3b00, -v21
	v_fma_f16 v42, v20, 0xb574, -v23
	v_add_f16_e32 v3, v3, v18
	v_add_f16_e32 v43, v17, v18
	;; [unrolled: 1-line block ×3, first 2 shown]
	s_waitcnt lgkmcnt(0)
	s_barrier
	buffer_gl0_inv
	ds_read_u16 v17, v15
	ds_read_u16 v25, v16 offset:182
	ds_read_u16 v23, v16 offset:364
	;; [unrolled: 1-line block ×10, first 2 shown]
	v_fmac_f16_e32 v40, 0x370e, v28
	v_fmac_f16_e32 v42, 0x370e, v28
	;; [unrolled: 1-line block ×3, first 2 shown]
	s_waitcnt lgkmcnt(0)
	s_barrier
	v_sub_f16_e32 v28, v3, v40
	v_sub_f16_e32 v44, v1, v42
	v_add_f16_e32 v45, v41, v43
	v_sub_f16_e32 v41, v43, v41
	v_add_f16_e32 v1, v42, v1
	v_add_f16_e32 v3, v40, v3
	buffer_gl0_inv
	ds_write_b16 v30, v14
	ds_write_b16 v30, v28 offset:26
	ds_write_b16 v30, v44 offset:52
	;; [unrolled: 1-line block ×6, first 2 shown]
	s_and_saveexec_b32 s1, s0
	s_cbranch_execz .LBB0_25
; %bb.24:
	v_add_f16_e32 v1, v32, v39
	v_add_f16_e32 v3, v33, v35
	;; [unrolled: 1-line block ×3, first 2 shown]
	v_sub_f16_e32 v6, v7, v6
	v_sub_f16_e32 v7, v38, v37
	;; [unrolled: 1-line block ×3, first 2 shown]
	v_add_f16_e32 v28, v3, v1
	v_sub_f16_e32 v30, v3, v1
	v_sub_f16_e32 v1, v1, v14
	;; [unrolled: 1-line block ×3, first 2 shown]
	v_add_f16_e32 v31, v7, v6
	v_add_f16_e32 v14, v14, v28
	v_sub_f16_e32 v28, v7, v6
	v_sub_f16_e32 v7, v2, v7
	;; [unrolled: 1-line block ×3, first 2 shown]
	v_add_f16_e32 v2, v31, v2
	v_add_f16_e32 v0, v0, v14
	v_mul_f16_e32 v31, 0x2b26, v3
	v_mul_f16_e32 v1, 0x3a52, v1
	;; [unrolled: 1-line block ×4, first 2 shown]
	v_fmamk_f16 v14, v14, 0xbcab, v0
	v_fma_f16 v31, v30, 0x39e0, -v31
	v_fmamk_f16 v3, v3, 0x2b26, v1
	v_fma_f16 v1, v30, 0xb9e0, -v1
	;; [unrolled: 2-line block ×3, first 2 shown]
	v_add_f16_e32 v28, v31, v14
	v_mov_b32_e32 v31, 1
	v_fma_f16 v7, v7, 0xb574, -v32
	v_add_f16_e32 v3, v3, v14
	v_add_f16_e32 v1, v1, v14
	v_mad_u32_u24 v14, 0xb6, v29, 0
	v_lshlrev_b32_sdwa v13, v31, v13 dst_sel:DWORD dst_unused:UNUSED_PAD src0_sel:DWORD src1_sel:BYTE_0
	v_fmac_f16_e32 v30, 0x370e, v2
	v_fmac_f16_e32 v7, 0x370e, v2
	;; [unrolled: 1-line block ×3, first 2 shown]
	v_add3_u32 v5, v14, v13, v5
	v_sub_f16_e32 v2, v3, v30
	v_sub_f16_e32 v29, v1, v7
	v_add_f16_e32 v13, v6, v28
	v_sub_f16_e32 v6, v28, v6
	v_add_f16_e32 v1, v7, v1
	v_add_f16_e32 v3, v30, v3
	ds_write_b16 v5, v0
	ds_write_b16 v5, v2 offset:26
	ds_write_b16 v5, v29 offset:52
	;; [unrolled: 1-line block ×6, first 2 shown]
.LBB0_25:
	s_or_b32 exec_lo, exec_lo, s1
	s_waitcnt lgkmcnt(0)
	s_barrier
	buffer_gl0_inv
	s_and_saveexec_b32 s0, vcc_lo
	s_cbranch_execz .LBB0_27
; %bb.26:
	v_mul_u32_u24_e32 v0, 10, v4
	v_mul_lo_u32 v28, s3, v11
	v_mul_lo_u32 v12, s2, v12
	v_mad_u64_u32 v[30:31], null, s2, v11, 0
	v_lshlrev_b32_e32 v4, 2, v0
	v_lshlrev_b64 v[8:9], 2, v[8:9]
	v_mov_b32_e32 v11, 0
	s_clause 0x2
	global_load_dwordx2 v[13:14], v4, s[12:13] offset:344
	global_load_dwordx4 v[0:3], v4, s[12:13] offset:312
	global_load_dwordx4 v[4:7], v4, s[12:13] offset:328
	v_add3_u32 v31, v31, v12, v28
	ds_read_u16 v29, v16 offset:1820
	ds_read_u16 v28, v16 offset:1638
	;; [unrolled: 1-line block ×7, first 2 shown]
	v_lshlrev_b64 v[10:11], 2, v[10:11]
	v_lshlrev_b64 v[30:31], 2, v[30:31]
	v_add_co_u32 v30, vcc_lo, s10, v30
	v_add_co_ci_u32_e32 v31, vcc_lo, s11, v31, vcc_lo
	v_add_co_u32 v8, vcc_lo, v30, v8
	v_add_co_ci_u32_e32 v9, vcc_lo, v31, v9, vcc_lo
	ds_read_u16 v30, v16 offset:1274
	ds_read_u16 v31, v16 offset:1092
	;; [unrolled: 1-line block ×3, first 2 shown]
	v_add_co_u32 v8, vcc_lo, v8, v10
	ds_read_u16 v10, v15
	v_add_co_ci_u32_e32 v9, vcc_lo, v9, v11, vcc_lo
	v_add_co_u32 v15, vcc_lo, 0x800, v8
	v_add_co_ci_u32_e32 v16, vcc_lo, 0, v9, vcc_lo
	s_waitcnt vmcnt(2)
	v_mul_f16_sdwa v11, v27, v14 dst_sel:DWORD dst_unused:UNUSED_PAD src0_sel:DWORD src1_sel:WORD_1
	s_waitcnt vmcnt(1)
	v_mul_f16_sdwa v37, v25, v0 dst_sel:DWORD dst_unused:UNUSED_PAD src0_sel:DWORD src1_sel:WORD_1
	s_waitcnt lgkmcnt(7)
	v_mul_f16_sdwa v38, v32, v0 dst_sel:DWORD dst_unused:UNUSED_PAD src0_sel:DWORD src1_sel:WORD_1
	v_mul_f16_sdwa v39, v29, v14 dst_sel:DWORD dst_unused:UNUSED_PAD src0_sel:DWORD src1_sel:WORD_1
	;; [unrolled: 1-line block ×4, first 2 shown]
	s_waitcnt lgkmcnt(6)
	v_mul_f16_sdwa v42, v33, v1 dst_sel:DWORD dst_unused:UNUSED_PAD src0_sel:DWORD src1_sel:WORD_1
	v_mul_f16_sdwa v43, v28, v13 dst_sel:DWORD dst_unused:UNUSED_PAD src0_sel:DWORD src1_sel:WORD_1
	s_waitcnt vmcnt(0)
	v_mul_f16_sdwa v52, v19, v5 dst_sel:DWORD dst_unused:UNUSED_PAD src0_sel:DWORD src1_sel:WORD_1
	v_mul_f16_sdwa v53, v18, v4 dst_sel:DWORD dst_unused:UNUSED_PAD src0_sel:DWORD src1_sel:WORD_1
	s_waitcnt lgkmcnt(1)
	v_mul_f16_sdwa v54, v36, v4 dst_sel:DWORD dst_unused:UNUSED_PAD src0_sel:DWORD src1_sel:WORD_1
	v_fmac_f16_e32 v11, v29, v14
	v_fmac_f16_e32 v37, v32, v0
	v_fma_f16 v0, v25, v0, -v38
	v_fma_f16 v14, v27, v14, -v39
	v_mul_f16_sdwa v44, v24, v7 dst_sel:DWORD dst_unused:UNUSED_PAD src0_sel:DWORD src1_sel:WORD_1
	v_mul_f16_sdwa v45, v22, v2 dst_sel:DWORD dst_unused:UNUSED_PAD src0_sel:DWORD src1_sel:WORD_1
	;; [unrolled: 1-line block ×9, first 2 shown]
	v_fmac_f16_e32 v40, v28, v13
	v_fmac_f16_e32 v41, v33, v1
	v_fma_f16 v1, v23, v1, -v42
	v_fma_f16 v13, v26, v13, -v43
	v_fmac_f16_e32 v52, v31, v5
	v_fmac_f16_e32 v53, v36, v4
	v_fma_f16 v4, v18, v4, -v54
	v_sub_f16_e32 v18, v0, v14
	v_add_f16_e32 v27, v14, v0
	v_add_f16_e32 v0, v17, v0
	s_waitcnt lgkmcnt(0)
	v_add_f16_e32 v31, v10, v37
	v_fmac_f16_e32 v44, v12, v7
	v_fmac_f16_e32 v45, v34, v2
	v_fma_f16 v2, v22, v2, -v46
	v_fma_f16 v7, v24, v7, -v47
	v_fmac_f16_e32 v48, v30, v6
	v_fmac_f16_e32 v49, v35, v3
	v_fma_f16 v3, v20, v3, -v50
	v_fma_f16 v6, v21, v6, -v51
	;; [unrolled: 1-line block ×3, first 2 shown]
	v_sub_f16_e32 v20, v1, v13
	v_add_f16_e32 v29, v13, v1
	v_add_f16_e32 v0, v0, v1
	;; [unrolled: 1-line block ×6, first 2 shown]
	v_sub_f16_e32 v22, v2, v7
	v_add_f16_e32 v23, v48, v49
	v_sub_f16_e32 v24, v3, v6
	v_add_f16_e32 v25, v52, v53
	v_sub_f16_e32 v26, v4, v5
	v_sub_f16_e32 v28, v37, v11
	v_add_f16_e32 v1, v1, v45
	v_add_f16_e32 v0, v0, v2
	v_sub_f16_e32 v30, v41, v40
	v_sub_f16_e32 v32, v45, v44
	;; [unrolled: 1-line block ×4, first 2 shown]
	v_mul_f16_e32 v38, 0x36a6, v12
	v_mul_f16_e32 v39, 0xb93d, v19
	;; [unrolled: 1-line block ×30, first 2 shown]
	v_add_f16_e32 v0, v0, v3
	v_add_f16_e32 v1, v1, v49
	;; [unrolled: 1-line block ×5, first 2 shown]
	v_mul_f16_e32 v50, 0xba0c, v30
	v_mul_f16_e32 v59, 0x3482, v30
	;; [unrolled: 1-line block ×20, first 2 shown]
	v_fmamk_f16 v89, v18, 0x3b47, v38
	v_fmamk_f16 v90, v20, 0x3a0c, v39
	;; [unrolled: 1-line block ×20, first 2 shown]
	v_fmac_f16_e32 v67, 0xb482, v18
	v_fmac_f16_e32 v60, 0xba0c, v18
	v_fmac_f16_e32 v51, 0xbbeb, v18
	v_fmac_f16_e32 v38, 0xbb47, v18
	v_fmamk_f16 v18, v22, 0x3a0c, v69
	v_fmac_f16_e32 v68, 0x3853, v20
	v_fmac_f16_e32 v61, 0x3beb, v20
	v_fmac_f16_e32 v54, 0x3482, v20
	v_fmac_f16_e32 v39, 0xba0c, v20
	v_fmamk_f16 v20, v24, 0xbb47, v70
	;; [unrolled: 5-line block ×4, first 2 shown]
	v_fmac_f16_e32 v71, 0xbbeb, v26
	v_fma_f16 v72, v27, 0xbbad, -v72
	v_fmac_f16_e32 v64, 0x3b47, v26
	v_fmac_f16_e32 v57, 0xba0c, v26
	;; [unrolled: 1-line block ×3, first 2 shown]
	v_fma_f16 v26, v27, 0x36a6, -v47
	v_fmamk_f16 v47, v12, 0x3abb, v74
	v_fma_f16 v12, v12, 0x3abb, -v74
	v_fmamk_f16 v74, v19, 0x36a6, v75
	;; [unrolled: 2-line block ×5, first 2 shown]
	v_fma_f16 v25, v25, 0xbbad, -v78
	v_fma_f16 v78, v27, 0x3abb, -v28
	;; [unrolled: 1-line block ×4, first 2 shown]
	v_add_f16_e32 v0, v0, v4
	v_add_f16_e32 v1, v1, v53
	v_fmamk_f16 v95, v29, 0xb93d, v50
	v_fmamk_f16 v102, v29, 0xbbad, v59
	;; [unrolled: 1-line block ×3, first 2 shown]
	v_fmac_f16_e32 v28, 0x3abb, v27
	v_fmamk_f16 v27, v29, 0x3abb, v73
	v_fma_f16 v73, v29, 0x3abb, -v73
	v_fma_f16 v66, v29, 0xb08e, -v66
	;; [unrolled: 1-line block ×5, first 2 shown]
	v_fmac_f16_e32 v30, 0x36a6, v29
	v_fmamk_f16 v2, v33, 0xb93d, v31
	v_fma_f16 v29, v33, 0xb93d, -v31
	v_fmamk_f16 v31, v33, 0x3abb, v79
	v_fma_f16 v45, v33, 0x3abb, -v79
	v_fmamk_f16 v79, v33, 0x36a6, v80
	v_fma_f16 v80, v33, 0x36a6, -v80
	v_fmamk_f16 v113, v33, 0xbbad, v41
	v_fma_f16 v41, v33, 0xbbad, -v41
	v_fma_f16 v114, v33, 0xb08e, -v32
	v_fmac_f16_e32 v32, 0xb08e, v33
	v_fmamk_f16 v33, v35, 0x36a6, v84
	v_fma_f16 v84, v35, 0x36a6, -v84
	v_fmamk_f16 v115, v35, 0xbbad, v83
	v_fma_f16 v83, v35, 0xbbad, -v83
	v_fmamk_f16 v116, v35, 0x3abb, v82
	v_fma_f16 v82, v35, 0x3abb, -v82
	v_fmamk_f16 v117, v35, 0xb08e, v81
	v_fma_f16 v81, v35, 0xb08e, -v81
	v_fma_f16 v118, v35, 0xb93d, -v34
	v_fmac_f16_e32 v34, 0xb93d, v35
	v_fmamk_f16 v35, v37, 0xb08e, v88
	v_fma_f16 v88, v37, 0xb08e, -v88
	v_fmamk_f16 v119, v37, 0x36a6, v87
	v_fma_f16 v87, v37, 0x36a6, -v87
	v_fmamk_f16 v120, v37, 0xb93d, v86
	v_fma_f16 v86, v37, 0xb93d, -v86
	v_fmamk_f16 v121, v37, 0x3abb, v85
	v_fma_f16 v85, v37, 0x3abb, -v85
	v_fma_f16 v122, v37, 0xbbad, -v36
	v_fmac_f16_e32 v36, 0xbbad, v37
	v_add_f16_e32 v3, v10, v89
	v_add_f16_e32 v37, v10, v96
	v_add_f16_e32 v49, v10, v103
	v_add_f16_e32 v89, v10, v110
	v_add_f16_e32 v67, v10, v67
	v_add_f16_e32 v60, v10, v60
	v_add_f16_e32 v51, v10, v51
	v_add_f16_e32 v38, v10, v38
	v_add_f16_e32 v47, v10, v47
	v_add_f16_e32 v10, v10, v12
	v_add_f16_e32 v12, v17, v94
	v_add_f16_e32 v94, v17, v101
	v_add_f16_e32 v96, v17, v108
	v_add_f16_e32 v24, v17, v24
	v_add_f16_e32 v72, v17, v72
	v_add_f16_e32 v26, v17, v26
	v_add_f16_e32 v78, v17, v78
	v_add_f16_e32 v65, v17, v65
	v_add_f16_e32 v58, v17, v58
	v_add_f16_e32 v0, v5, v0
	v_add_f16_e32 v1, v52, v1
	v_add_f16_e32 v17, v17, v28
	v_add_f16_e32 v3, v3, v90
	v_add_f16_e32 v12, v12, v95
	v_add_f16_e32 v28, v37, v97
	v_add_f16_e32 v37, v94, v102
	v_add_f16_e32 v49, v49, v104
	v_add_f16_e32 v90, v96, v109
	v_add_f16_e32 v89, v89, v111
	v_add_f16_e32 v24, v24, v27
	v_add_f16_e32 v27, v67, v68
	v_add_f16_e32 v67, v72, v73
	v_add_f16_e32 v60, v60, v61
	v_add_f16_e32 v51, v51, v54
	v_add_f16_e32 v38, v38, v39
	v_add_f16_e32 v26, v26, v50
	v_add_f16_e32 v39, v47, v74
	v_add_f16_e32 v47, v78, v112
	v_add_f16_e32 v61, v65, v66
	v_add_f16_e32 v54, v58, v59
	v_add_f16_e32 v0, v6, v0
	v_add_f16_e32 v1, v48, v1
	v_add_f16_e32 v4, v10, v19
	v_add_f16_e32 v10, v17, v30
	v_add_f16_e32 v12, v12, v113
	v_add_f16_e32 v17, v28, v98
	v_add_f16_e32 v19, v37, v79
	v_add_f16_e32 v28, v49, v105
	v_add_f16_e32 v30, v90, v31
	v_add_f16_e32 v18, v89, v18
	v_add_f16_e32 v2, v24, v2
	v_add_f16_e32 v24, v27, v69
	v_add_f16_e32 v27, v67, v29
	v_add_f16_e32 v29, v60, v62
	v_add_f16_e32 v37, v51, v55
	v_add_f16_e32 v26, v26, v41
	v_add_f16_e32 v39, v39, v75
	v_add_f16_e32 v41, v47, v114
	v_add_f16_e32 v31, v61, v45
	v_add_f16_e32 v38, v38, v42
	v_add_f16_e32 v45, v54, v80
	v_add_f16_e32 v3, v3, v91
	v_add_f16_e32 v0, v7, v0
	v_add_f16_e32 v1, v44, v1
	v_add_f16_e32 v4, v4, v21
	v_add_f16_e32 v5, v10, v32
	v_add_f16_e32 v10, v12, v117
	v_add_f16_e32 v12, v17, v99
	v_add_f16_e32 v17, v19, v116
	v_add_f16_e32 v19, v28, v106
	v_add_f16_e32 v21, v30, v115
	v_add_f16_e32 v18, v18, v20
	v_add_f16_e32 v2, v2, v33
	v_add_f16_e32 v20, v24, v70
	v_add_f16_e32 v24, v27, v84
	v_add_f16_e32 v27, v29, v63
	v_add_f16_e32 v29, v37, v56
	v_add_f16_e32 v32, v39, v76
	v_add_f16_e32 v33, v41, v118
	v_add_f16_e32 v28, v31, v83
	v_add_f16_e32 v31, v38, v43
	v_add_f16_e32 v26, v26, v81
	v_add_f16_e32 v30, v45, v82
	v_add_f16_e32 v3, v3, v92
	v_add_f16_e32 v0, v13, v0
	v_add_f16_e32 v1, v40, v1
	v_add_f16_e32 v4, v4, v23
	v_add_f16_e32 v5, v5, v34
	v_add_f16_e32 v6, v10, v121
	v_add_f16_e32 v10, v12, v100
	v_add_f16_e32 v12, v17, v120
	v_add_f16_e32 v17, v19, v107
	v_add_f16_e32 v19, v21, v119
	v_add_f16_e32 v18, v18, v22
	v_add_f16_e32 v2, v2, v35
	v_add_f16_e32 v21, v24, v88
	v_add_f16_e32 v24, v29, v57
	v_add_f16_e32 v29, v32, v77
	v_add_f16_e32 v7, v33, v122
	v_add_f16_e32 v23, v28, v87
	v_add_f16_e32 v28, v31, v46
	v_add_f16_e32 v26, v26, v85
	v_add_f16_e32 v22, v27, v64
	v_add_f16_e32 v27, v30, v86
	v_add_f16_e32 v3, v3, v93
	v_add_f16_e32 v20, v20, v71
	v_add_f16_e32 v0, v14, v0
	v_add_f16_e32 v1, v11, v1
	v_add_f16_e32 v4, v4, v25
	v_add_f16_e32 v5, v5, v36
	v_pack_b32_f16 v7, v7, v29
	v_pack_b32_f16 v2, v2, v18
	;; [unrolled: 1-line block ×11, first 2 shown]
	global_store_dword v[8:9], v7, off offset:364
	global_store_dword v[8:9], v13, off offset:728
	;; [unrolled: 1-line block ×9, first 2 shown]
	global_store_dword v[8:9], v0, off
	global_store_dword v[15:16], v4, off offset:1592
.LBB0_27:
	s_endpgm
	.section	.rodata,"a",@progbits
	.p2align	6, 0x0
	.amdhsa_kernel fft_rtc_fwd_len1001_factors_13_7_11_wgs_182_tpt_91_halfLds_half_op_CI_CI_unitstride_sbrr_dirReg
		.amdhsa_group_segment_fixed_size 0
		.amdhsa_private_segment_fixed_size 0
		.amdhsa_kernarg_size 104
		.amdhsa_user_sgpr_count 6
		.amdhsa_user_sgpr_private_segment_buffer 1
		.amdhsa_user_sgpr_dispatch_ptr 0
		.amdhsa_user_sgpr_queue_ptr 0
		.amdhsa_user_sgpr_kernarg_segment_ptr 1
		.amdhsa_user_sgpr_dispatch_id 0
		.amdhsa_user_sgpr_flat_scratch_init 0
		.amdhsa_user_sgpr_private_segment_size 0
		.amdhsa_wavefront_size32 1
		.amdhsa_uses_dynamic_stack 0
		.amdhsa_system_sgpr_private_segment_wavefront_offset 0
		.amdhsa_system_sgpr_workgroup_id_x 1
		.amdhsa_system_sgpr_workgroup_id_y 0
		.amdhsa_system_sgpr_workgroup_id_z 0
		.amdhsa_system_sgpr_workgroup_info 0
		.amdhsa_system_vgpr_workitem_id 0
		.amdhsa_next_free_vgpr 123
		.amdhsa_next_free_sgpr 27
		.amdhsa_reserve_vcc 1
		.amdhsa_reserve_flat_scratch 0
		.amdhsa_float_round_mode_32 0
		.amdhsa_float_round_mode_16_64 0
		.amdhsa_float_denorm_mode_32 3
		.amdhsa_float_denorm_mode_16_64 3
		.amdhsa_dx10_clamp 1
		.amdhsa_ieee_mode 1
		.amdhsa_fp16_overflow 0
		.amdhsa_workgroup_processor_mode 1
		.amdhsa_memory_ordered 1
		.amdhsa_forward_progress 0
		.amdhsa_shared_vgpr_count 0
		.amdhsa_exception_fp_ieee_invalid_op 0
		.amdhsa_exception_fp_denorm_src 0
		.amdhsa_exception_fp_ieee_div_zero 0
		.amdhsa_exception_fp_ieee_overflow 0
		.amdhsa_exception_fp_ieee_underflow 0
		.amdhsa_exception_fp_ieee_inexact 0
		.amdhsa_exception_int_div_zero 0
	.end_amdhsa_kernel
	.text
.Lfunc_end0:
	.size	fft_rtc_fwd_len1001_factors_13_7_11_wgs_182_tpt_91_halfLds_half_op_CI_CI_unitstride_sbrr_dirReg, .Lfunc_end0-fft_rtc_fwd_len1001_factors_13_7_11_wgs_182_tpt_91_halfLds_half_op_CI_CI_unitstride_sbrr_dirReg
                                        ; -- End function
	.section	.AMDGPU.csdata,"",@progbits
; Kernel info:
; codeLenInByte = 9768
; NumSgprs: 29
; NumVgprs: 123
; ScratchSize: 0
; MemoryBound: 0
; FloatMode: 240
; IeeeMode: 1
; LDSByteSize: 0 bytes/workgroup (compile time only)
; SGPRBlocks: 3
; VGPRBlocks: 15
; NumSGPRsForWavesPerEU: 29
; NumVGPRsForWavesPerEU: 123
; Occupancy: 8
; WaveLimiterHint : 1
; COMPUTE_PGM_RSRC2:SCRATCH_EN: 0
; COMPUTE_PGM_RSRC2:USER_SGPR: 6
; COMPUTE_PGM_RSRC2:TRAP_HANDLER: 0
; COMPUTE_PGM_RSRC2:TGID_X_EN: 1
; COMPUTE_PGM_RSRC2:TGID_Y_EN: 0
; COMPUTE_PGM_RSRC2:TGID_Z_EN: 0
; COMPUTE_PGM_RSRC2:TIDIG_COMP_CNT: 0
	.text
	.p2alignl 6, 3214868480
	.fill 48, 4, 3214868480
	.type	__hip_cuid_9d0b9a5d4e4e87ae,@object ; @__hip_cuid_9d0b9a5d4e4e87ae
	.section	.bss,"aw",@nobits
	.globl	__hip_cuid_9d0b9a5d4e4e87ae
__hip_cuid_9d0b9a5d4e4e87ae:
	.byte	0                               ; 0x0
	.size	__hip_cuid_9d0b9a5d4e4e87ae, 1

	.ident	"AMD clang version 19.0.0git (https://github.com/RadeonOpenCompute/llvm-project roc-6.4.0 25133 c7fe45cf4b819c5991fe208aaa96edf142730f1d)"
	.section	".note.GNU-stack","",@progbits
	.addrsig
	.addrsig_sym __hip_cuid_9d0b9a5d4e4e87ae
	.amdgpu_metadata
---
amdhsa.kernels:
  - .args:
      - .actual_access:  read_only
        .address_space:  global
        .offset:         0
        .size:           8
        .value_kind:     global_buffer
      - .offset:         8
        .size:           8
        .value_kind:     by_value
      - .actual_access:  read_only
        .address_space:  global
        .offset:         16
        .size:           8
        .value_kind:     global_buffer
      - .actual_access:  read_only
        .address_space:  global
        .offset:         24
        .size:           8
        .value_kind:     global_buffer
      - .actual_access:  read_only
        .address_space:  global
        .offset:         32
        .size:           8
        .value_kind:     global_buffer
      - .offset:         40
        .size:           8
        .value_kind:     by_value
      - .actual_access:  read_only
        .address_space:  global
        .offset:         48
        .size:           8
        .value_kind:     global_buffer
      - .actual_access:  read_only
        .address_space:  global
        .offset:         56
        .size:           8
        .value_kind:     global_buffer
      - .offset:         64
        .size:           4
        .value_kind:     by_value
      - .actual_access:  read_only
        .address_space:  global
        .offset:         72
        .size:           8
        .value_kind:     global_buffer
      - .actual_access:  read_only
        .address_space:  global
        .offset:         80
        .size:           8
        .value_kind:     global_buffer
      - .actual_access:  read_only
        .address_space:  global
        .offset:         88
        .size:           8
        .value_kind:     global_buffer
      - .actual_access:  write_only
        .address_space:  global
        .offset:         96
        .size:           8
        .value_kind:     global_buffer
    .group_segment_fixed_size: 0
    .kernarg_segment_align: 8
    .kernarg_segment_size: 104
    .language:       OpenCL C
    .language_version:
      - 2
      - 0
    .max_flat_workgroup_size: 182
    .name:           fft_rtc_fwd_len1001_factors_13_7_11_wgs_182_tpt_91_halfLds_half_op_CI_CI_unitstride_sbrr_dirReg
    .private_segment_fixed_size: 0
    .sgpr_count:     29
    .sgpr_spill_count: 0
    .symbol:         fft_rtc_fwd_len1001_factors_13_7_11_wgs_182_tpt_91_halfLds_half_op_CI_CI_unitstride_sbrr_dirReg.kd
    .uniform_work_group_size: 1
    .uses_dynamic_stack: false
    .vgpr_count:     123
    .vgpr_spill_count: 0
    .wavefront_size: 32
    .workgroup_processor_mode: 1
amdhsa.target:   amdgcn-amd-amdhsa--gfx1030
amdhsa.version:
  - 1
  - 2
...

	.end_amdgpu_metadata
